;; amdgpu-corpus repo=ROCm/rocFFT kind=compiled arch=gfx1030 opt=O3
	.text
	.amdgcn_target "amdgcn-amd-amdhsa--gfx1030"
	.amdhsa_code_object_version 6
	.protected	fft_rtc_fwd_len416_factors_13_2_16_wgs_64_tpt_32_dp_op_CI_CI_unitstride_sbrr_R2C_dirReg ; -- Begin function fft_rtc_fwd_len416_factors_13_2_16_wgs_64_tpt_32_dp_op_CI_CI_unitstride_sbrr_R2C_dirReg
	.globl	fft_rtc_fwd_len416_factors_13_2_16_wgs_64_tpt_32_dp_op_CI_CI_unitstride_sbrr_R2C_dirReg
	.p2align	8
	.type	fft_rtc_fwd_len416_factors_13_2_16_wgs_64_tpt_32_dp_op_CI_CI_unitstride_sbrr_R2C_dirReg,@function
fft_rtc_fwd_len416_factors_13_2_16_wgs_64_tpt_32_dp_op_CI_CI_unitstride_sbrr_R2C_dirReg: ; @fft_rtc_fwd_len416_factors_13_2_16_wgs_64_tpt_32_dp_op_CI_CI_unitstride_sbrr_R2C_dirReg
; %bb.0:
	s_clause 0x2
	s_load_dwordx4 s[12:15], s[4:5], 0x0
	s_load_dwordx4 s[8:11], s[4:5], 0x58
	;; [unrolled: 1-line block ×3, first 2 shown]
	v_lshrrev_b32_e32 v1, 5, v0
	v_mov_b32_e32 v3, 0
	v_lshl_or_b32 v5, s6, 1, v1
	v_mov_b32_e32 v1, 0
	v_mov_b32_e32 v6, v3
	v_mov_b32_e32 v2, 0
	s_waitcnt lgkmcnt(0)
	v_cmp_lt_u64_e64 s0, s[14:15], 2
	s_and_b32 vcc_lo, exec_lo, s0
	s_cbranch_vccnz .LBB0_8
; %bb.1:
	s_load_dwordx2 s[0:1], s[4:5], 0x10
	v_mov_b32_e32 v1, 0
	v_mov_b32_e32 v2, 0
	s_add_u32 s2, s18, 8
	s_addc_u32 s3, s19, 0
	s_add_u32 s6, s16, 8
	s_addc_u32 s7, s17, 0
	v_mov_b32_e32 v65, v2
	v_mov_b32_e32 v64, v1
	s_mov_b64 s[22:23], 1
	s_waitcnt lgkmcnt(0)
	s_add_u32 s20, s0, 8
	s_addc_u32 s21, s1, 0
.LBB0_2:                                ; =>This Inner Loop Header: Depth=1
	s_load_dwordx2 s[24:25], s[20:21], 0x0
                                        ; implicit-def: $vgpr68_vgpr69
	s_mov_b32 s0, exec_lo
	s_waitcnt lgkmcnt(0)
	v_or_b32_e32 v4, s25, v6
	v_cmpx_ne_u64_e32 0, v[3:4]
	s_xor_b32 s1, exec_lo, s0
	s_cbranch_execz .LBB0_4
; %bb.3:                                ;   in Loop: Header=BB0_2 Depth=1
	v_cvt_f32_u32_e32 v4, s24
	v_cvt_f32_u32_e32 v7, s25
	s_sub_u32 s0, 0, s24
	s_subb_u32 s26, 0, s25
	v_fmac_f32_e32 v4, 0x4f800000, v7
	v_rcp_f32_e32 v4, v4
	v_mul_f32_e32 v4, 0x5f7ffffc, v4
	v_mul_f32_e32 v7, 0x2f800000, v4
	v_trunc_f32_e32 v7, v7
	v_fmac_f32_e32 v4, 0xcf800000, v7
	v_cvt_u32_f32_e32 v7, v7
	v_cvt_u32_f32_e32 v4, v4
	v_mul_lo_u32 v8, s0, v7
	v_mul_hi_u32 v9, s0, v4
	v_mul_lo_u32 v10, s26, v4
	v_add_nc_u32_e32 v8, v9, v8
	v_mul_lo_u32 v9, s0, v4
	v_add_nc_u32_e32 v8, v8, v10
	v_mul_hi_u32 v10, v4, v9
	v_mul_lo_u32 v11, v4, v8
	v_mul_hi_u32 v12, v4, v8
	v_mul_hi_u32 v13, v7, v9
	v_mul_lo_u32 v9, v7, v9
	v_mul_hi_u32 v14, v7, v8
	v_mul_lo_u32 v8, v7, v8
	v_add_co_u32 v10, vcc_lo, v10, v11
	v_add_co_ci_u32_e32 v11, vcc_lo, 0, v12, vcc_lo
	v_add_co_u32 v9, vcc_lo, v10, v9
	v_add_co_ci_u32_e32 v9, vcc_lo, v11, v13, vcc_lo
	v_add_co_ci_u32_e32 v10, vcc_lo, 0, v14, vcc_lo
	v_add_co_u32 v8, vcc_lo, v9, v8
	v_add_co_ci_u32_e32 v9, vcc_lo, 0, v10, vcc_lo
	v_add_co_u32 v4, vcc_lo, v4, v8
	v_add_co_ci_u32_e32 v7, vcc_lo, v7, v9, vcc_lo
	v_mul_hi_u32 v8, s0, v4
	v_mul_lo_u32 v10, s26, v4
	v_mul_lo_u32 v9, s0, v7
	v_add_nc_u32_e32 v8, v8, v9
	v_mul_lo_u32 v9, s0, v4
	v_add_nc_u32_e32 v8, v8, v10
	v_mul_hi_u32 v10, v4, v9
	v_mul_lo_u32 v11, v4, v8
	v_mul_hi_u32 v12, v4, v8
	v_mul_hi_u32 v13, v7, v9
	v_mul_lo_u32 v9, v7, v9
	v_mul_hi_u32 v14, v7, v8
	v_mul_lo_u32 v8, v7, v8
	v_add_co_u32 v10, vcc_lo, v10, v11
	v_add_co_ci_u32_e32 v11, vcc_lo, 0, v12, vcc_lo
	v_add_co_u32 v9, vcc_lo, v10, v9
	v_add_co_ci_u32_e32 v9, vcc_lo, v11, v13, vcc_lo
	v_add_co_ci_u32_e32 v10, vcc_lo, 0, v14, vcc_lo
	v_add_co_u32 v8, vcc_lo, v9, v8
	v_add_co_ci_u32_e32 v9, vcc_lo, 0, v10, vcc_lo
	v_add_co_u32 v4, vcc_lo, v4, v8
	v_add_co_ci_u32_e32 v11, vcc_lo, v7, v9, vcc_lo
	v_mul_hi_u32 v13, v5, v4
	v_mad_u64_u32 v[9:10], null, v6, v4, 0
	v_mad_u64_u32 v[7:8], null, v5, v11, 0
	;; [unrolled: 1-line block ×3, first 2 shown]
	v_add_co_u32 v4, vcc_lo, v13, v7
	v_add_co_ci_u32_e32 v7, vcc_lo, 0, v8, vcc_lo
	v_add_co_u32 v4, vcc_lo, v4, v9
	v_add_co_ci_u32_e32 v4, vcc_lo, v7, v10, vcc_lo
	v_add_co_ci_u32_e32 v7, vcc_lo, 0, v12, vcc_lo
	v_add_co_u32 v4, vcc_lo, v4, v11
	v_add_co_ci_u32_e32 v9, vcc_lo, 0, v7, vcc_lo
	v_mul_lo_u32 v10, s25, v4
	v_mad_u64_u32 v[7:8], null, s24, v4, 0
	v_mul_lo_u32 v11, s24, v9
	v_sub_co_u32 v7, vcc_lo, v5, v7
	v_add3_u32 v8, v8, v11, v10
	v_sub_nc_u32_e32 v10, v6, v8
	v_subrev_co_ci_u32_e64 v10, s0, s25, v10, vcc_lo
	v_add_co_u32 v11, s0, v4, 2
	v_add_co_ci_u32_e64 v12, s0, 0, v9, s0
	v_sub_co_u32 v13, s0, v7, s24
	v_sub_co_ci_u32_e32 v8, vcc_lo, v6, v8, vcc_lo
	v_subrev_co_ci_u32_e64 v10, s0, 0, v10, s0
	v_cmp_le_u32_e32 vcc_lo, s24, v13
	v_cmp_eq_u32_e64 s0, s25, v8
	v_cndmask_b32_e64 v13, 0, -1, vcc_lo
	v_cmp_le_u32_e32 vcc_lo, s25, v10
	v_cndmask_b32_e64 v14, 0, -1, vcc_lo
	v_cmp_le_u32_e32 vcc_lo, s24, v7
	;; [unrolled: 2-line block ×3, first 2 shown]
	v_cndmask_b32_e64 v15, 0, -1, vcc_lo
	v_cmp_eq_u32_e32 vcc_lo, s25, v10
	v_cndmask_b32_e64 v7, v15, v7, s0
	v_cndmask_b32_e32 v10, v14, v13, vcc_lo
	v_add_co_u32 v13, vcc_lo, v4, 1
	v_add_co_ci_u32_e32 v14, vcc_lo, 0, v9, vcc_lo
	v_cmp_ne_u32_e32 vcc_lo, 0, v10
	v_cndmask_b32_e32 v8, v14, v12, vcc_lo
	v_cndmask_b32_e32 v10, v13, v11, vcc_lo
	v_cmp_ne_u32_e32 vcc_lo, 0, v7
	v_cndmask_b32_e32 v69, v9, v8, vcc_lo
	v_cndmask_b32_e32 v68, v4, v10, vcc_lo
.LBB0_4:                                ;   in Loop: Header=BB0_2 Depth=1
	s_andn2_saveexec_b32 s0, s1
	s_cbranch_execz .LBB0_6
; %bb.5:                                ;   in Loop: Header=BB0_2 Depth=1
	v_cvt_f32_u32_e32 v4, s24
	s_sub_i32 s1, 0, s24
	v_mov_b32_e32 v69, v3
	v_rcp_iflag_f32_e32 v4, v4
	v_mul_f32_e32 v4, 0x4f7ffffe, v4
	v_cvt_u32_f32_e32 v4, v4
	v_mul_lo_u32 v7, s1, v4
	v_mul_hi_u32 v7, v4, v7
	v_add_nc_u32_e32 v4, v4, v7
	v_mul_hi_u32 v4, v5, v4
	v_mul_lo_u32 v7, v4, s24
	v_add_nc_u32_e32 v8, 1, v4
	v_sub_nc_u32_e32 v7, v5, v7
	v_subrev_nc_u32_e32 v9, s24, v7
	v_cmp_le_u32_e32 vcc_lo, s24, v7
	v_cndmask_b32_e32 v7, v7, v9, vcc_lo
	v_cndmask_b32_e32 v4, v4, v8, vcc_lo
	v_cmp_le_u32_e32 vcc_lo, s24, v7
	v_add_nc_u32_e32 v8, 1, v4
	v_cndmask_b32_e32 v68, v4, v8, vcc_lo
.LBB0_6:                                ;   in Loop: Header=BB0_2 Depth=1
	s_or_b32 exec_lo, exec_lo, s0
	v_mul_lo_u32 v4, v69, s24
	v_mul_lo_u32 v9, v68, s25
	s_load_dwordx2 s[0:1], s[6:7], 0x0
	v_mad_u64_u32 v[7:8], null, v68, s24, 0
	s_load_dwordx2 s[24:25], s[2:3], 0x0
	s_add_u32 s22, s22, 1
	s_addc_u32 s23, s23, 0
	s_add_u32 s2, s2, 8
	s_addc_u32 s3, s3, 0
	s_add_u32 s6, s6, 8
	v_add3_u32 v4, v8, v9, v4
	v_sub_co_u32 v5, vcc_lo, v5, v7
	s_addc_u32 s7, s7, 0
	s_add_u32 s20, s20, 8
	v_sub_co_ci_u32_e32 v4, vcc_lo, v6, v4, vcc_lo
	s_addc_u32 s21, s21, 0
	s_waitcnt lgkmcnt(0)
	v_mul_lo_u32 v6, s0, v4
	v_mul_lo_u32 v7, s1, v5
	v_mad_u64_u32 v[1:2], null, s0, v5, v[1:2]
	v_mul_lo_u32 v4, s24, v4
	v_mul_lo_u32 v8, s25, v5
	v_mad_u64_u32 v[64:65], null, s24, v5, v[64:65]
	v_cmp_ge_u64_e64 s0, s[22:23], s[14:15]
	v_add3_u32 v2, v7, v2, v6
	v_add3_u32 v65, v8, v65, v4
	s_and_b32 vcc_lo, exec_lo, s0
	s_cbranch_vccnz .LBB0_9
; %bb.7:                                ;   in Loop: Header=BB0_2 Depth=1
	v_mov_b32_e32 v5, v68
	v_mov_b32_e32 v6, v69
	s_branch .LBB0_2
.LBB0_8:
	v_mov_b32_e32 v65, v2
	v_mov_b32_e32 v69, v6
	;; [unrolled: 1-line block ×4, first 2 shown]
.LBB0_9:
	s_load_dwordx2 s[2:3], s[4:5], 0x28
	v_and_b32_e32 v3, 32, v0
	s_lshl_b64 s[4:5], s[14:15], 3
	v_and_b32_e32 v66, 31, v0
                                        ; implicit-def: $vgpr71
                                        ; implicit-def: $vgpr76
                                        ; implicit-def: $vgpr75
                                        ; implicit-def: $vgpr74
                                        ; implicit-def: $vgpr73
                                        ; implicit-def: $vgpr70
	v_cmp_ne_u32_e64 s0, 0, v3
	s_waitcnt lgkmcnt(0)
	v_cmp_gt_u64_e32 vcc_lo, s[2:3], v[68:69]
	v_cmp_le_u64_e64 s1, s[2:3], v[68:69]
	s_add_u32 s2, s18, s4
	s_addc_u32 s3, s19, s5
	s_and_saveexec_b32 s6, s1
	s_xor_b32 s1, exec_lo, s6
; %bb.10:
	v_and_b32_e32 v66, 31, v0
                                        ; implicit-def: $vgpr1_vgpr2
	v_or_b32_e32 v71, 32, v66
	v_or_b32_e32 v76, 64, v66
	;; [unrolled: 1-line block ×6, first 2 shown]
; %bb.11:
	s_or_saveexec_b32 s1, s1
	v_cndmask_b32_e64 v0, 0, 0x1a1, s0
	v_lshlrev_b32_e32 v77, 4, v0
	s_xor_b32 exec_lo, exec_lo, s1
	s_cbranch_execz .LBB0_13
; %bb.12:
	s_add_u32 s4, s16, s4
	s_addc_u32 s5, s17, s5
	v_lshlrev_b64 v[0:1], 4, v[1:2]
	s_load_dwordx2 s[4:5], s[4:5], 0x0
	v_or_b32_e32 v74, 0x80, v66
	v_lshlrev_b32_e32 v52, 4, v66
	v_or_b32_e32 v73, 0xa0, v66
	v_or_b32_e32 v70, 0xc0, v66
	;; [unrolled: 1-line block ×6, first 2 shown]
	v_lshlrev_b32_e32 v7, 4, v70
	v_or_b32_e32 v10, 0x1400, v52
	v_or_b32_e32 v11, 0x1600, v52
	;; [unrolled: 1-line block ×4, first 2 shown]
	s_waitcnt lgkmcnt(0)
	v_mul_lo_u32 v5, s5, v68
	v_mul_lo_u32 v6, s4, v69
	v_mad_u64_u32 v[3:4], null, s4, v68, 0
	v_add3_u32 v4, v4, v6, v5
	v_lshlrev_b32_e32 v5, 4, v74
	v_lshlrev_b32_e32 v6, 4, v73
	v_lshlrev_b64 v[2:3], 4, v[3:4]
	v_or_b32_e32 v4, 0xe00, v52
	v_add_co_u32 v2, s0, s8, v2
	v_add_co_ci_u32_e64 v3, s0, s9, v3, s0
	v_add_co_u32 v14, s0, v2, v0
	v_add_co_ci_u32_e64 v15, s0, v3, v1, s0
	;; [unrolled: 2-line block ×12, first 2 shown]
	s_clause 0xc
	global_load_dwordx4 v[0:3], v[12:13], off
	global_load_dwordx4 v[4:7], v[12:13], off offset:512
	global_load_dwordx4 v[8:11], v[12:13], off offset:1024
	;; [unrolled: 1-line block ×3, first 2 shown]
	global_load_dwordx4 v[16:19], v[16:17], off
	global_load_dwordx4 v[20:23], v[20:21], off
	;; [unrolled: 1-line block ×9, first 2 shown]
	v_add3_u32 v52, 0, v77, v52
	s_waitcnt vmcnt(12)
	ds_write_b128 v52, v[0:3]
	s_waitcnt vmcnt(11)
	ds_write_b128 v52, v[4:7] offset:512
	s_waitcnt vmcnt(10)
	ds_write_b128 v52, v[8:11] offset:1024
	;; [unrolled: 2-line block ×12, first 2 shown]
.LBB0_13:
	s_or_b32 exec_lo, exec_lo, s1
	v_add_nc_u32_e32 v78, 0, v77
	v_lshlrev_b32_e32 v67, 4, v66
	s_load_dwordx2 s[2:3], s[2:3], 0x0
	s_waitcnt lgkmcnt(0)
	s_barrier
	buffer_gl0_inv
	v_add_nc_u32_e32 v79, v78, v67
	v_add3_u32 v72, 0, v67, v77
	s_mov_b32 s1, 0xbfddbe06
	s_mov_b32 s0, 0x4267c47c
	ds_read_b128 v[0:3], v79
	ds_read_b128 v[12:15], v72 offset:512
	ds_read_b128 v[20:23], v72 offset:1024
	;; [unrolled: 1-line block ×3, first 2 shown]
	s_mov_b32 s22, 0x42a4c3d2
	s_mov_b32 s4, 0xe00740e9
	;; [unrolled: 1-line block ×18, first 2 shown]
	s_waitcnt lgkmcnt(2)
	v_add_f64 v[4:5], v[0:1], v[12:13]
	v_add_f64 v[6:7], v[2:3], v[14:15]
	s_mov_b32 s27, 0xbfcea1e5
	s_mov_b32 s21, 0xbfe7f3cc
	;; [unrolled: 1-line block ×8, first 2 shown]
	s_waitcnt lgkmcnt(1)
	v_add_f64 v[4:5], v[4:5], v[20:21]
	v_add_f64 v[6:7], v[6:7], v[22:23]
	s_waitcnt lgkmcnt(0)
	v_add_f64 v[24:25], v[4:5], v[16:17]
	v_add_f64 v[26:27], v[6:7], v[18:19]
	ds_read_b128 v[8:11], v72 offset:2048
	ds_read_b128 v[4:7], v72 offset:2560
	;; [unrolled: 1-line block ×9, first 2 shown]
	s_waitcnt lgkmcnt(0)
	s_barrier
	buffer_gl0_inv
	v_add_f64 v[24:25], v[24:25], v[8:9]
	v_add_f64 v[26:27], v[26:27], v[10:11]
	v_add_f64 v[96:97], v[14:15], -v[82:83]
	v_add_f64 v[98:99], v[12:13], -v[80:81]
	v_add_f64 v[30:31], v[20:21], -v[84:85]
	v_add_f64 v[38:39], v[22:23], -v[86:87]
	v_add_f64 v[100:101], v[12:13], v[80:81]
	v_add_f64 v[104:105], v[14:15], v[82:83]
	v_add_f64 v[14:15], v[20:21], v[84:85]
	v_add_f64 v[12:13], v[22:23], v[86:87]
	v_add_f64 v[28:29], v[8:9], -v[48:49]
	v_add_f64 v[36:37], v[10:11], -v[50:51]
	v_add_f64 v[22:23], v[16:17], v[88:89]
	v_add_f64 v[20:21], v[18:19], v[90:91]
	v_add_f64 v[60:61], v[4:5], -v[92:93]
	v_add_f64 v[24:25], v[24:25], v[4:5]
	v_add_f64 v[26:27], v[26:27], v[6:7]
	v_mul_f64 v[102:103], v[96:97], s[0:1]
	v_mul_f64 v[106:107], v[98:99], s[0:1]
	;; [unrolled: 1-line block ×12, first 2 shown]
	s_mov_b32 s1, 0x3fddbe06
	v_add_f64 v[24:25], v[24:25], v[44:45]
	v_add_f64 v[26:27], v[26:27], v[46:47]
	v_fma_f64 v[56:57], v[100:101], s[4:5], -v[102:103]
	v_fma_f64 v[58:59], v[104:105], s[4:5], v[106:107]
	v_fma_f64 v[114:115], v[12:13], s[8:9], v[42:43]
	v_fma_f64 v[110:111], v[14:15], s[8:9], -v[40:41]
	v_fma_f64 v[102:103], v[100:101], s[4:5], v[102:103]
	v_fma_f64 v[106:107], v[104:105], s[4:5], -v[106:107]
	;; [unrolled: 2-line block ×3, first 2 shown]
	v_fma_f64 v[156:157], v[14:15], s[14:15], -v[134:135]
	v_add_f64 v[32:33], v[24:25], v[52:53]
	v_add_f64 v[34:35], v[26:27], v[54:55]
	v_add_f64 v[24:25], v[16:17], -v[88:89]
	v_add_f64 v[26:27], v[18:19], -v[90:91]
	v_add_f64 v[112:113], v[0:1], v[56:57]
	v_add_f64 v[116:117], v[2:3], v[58:59]
	v_mul_f64 v[56:57], v[36:37], s[18:19]
	v_mul_f64 v[58:59], v[28:29], s[18:19]
	v_add_f64 v[16:17], v[44:45], v[52:53]
	v_add_f64 v[18:19], v[46:47], v[54:55]
	v_add_f64 v[46:47], v[46:47], -v[54:55]
	v_add_f64 v[44:45], v[44:45], -v[52:53]
	v_mul_f64 v[54:55], v[60:61], s[24:25]
	v_add_f64 v[102:103], v[0:1], v[102:103]
	v_add_f64 v[106:107], v[2:3], v[106:107]
	;; [unrolled: 1-line block ×6, first 2 shown]
	v_mul_f64 v[34:35], v[24:25], s[28:29]
	v_mul_f64 v[32:33], v[26:27], s[28:29]
	v_add_f64 v[110:111], v[110:111], v[112:113]
	v_add_f64 v[114:115], v[114:115], v[116:117]
	v_mul_f64 v[116:117], v[96:97], s[18:19]
	v_mul_f64 v[132:133], v[26:27], s[26:27]
	;; [unrolled: 1-line block ×3, first 2 shown]
	v_add_f64 v[118:119], v[62:63], v[48:49]
	v_add_f64 v[108:109], v[108:109], v[50:51]
	v_add_f64 v[62:63], v[6:7], -v[94:95]
	v_add_f64 v[48:49], v[8:9], v[48:49]
	v_add_f64 v[50:51], v[10:11], v[50:51]
	v_fma_f64 v[120:121], v[22:23], s[6:7], -v[32:33]
	v_fma_f64 v[112:113], v[20:21], s[6:7], v[34:35]
	v_add_f64 v[8:9], v[4:5], v[92:93]
	v_add_f64 v[10:11], v[6:7], v[94:95]
	v_mul_f64 v[92:93], v[96:97], s[22:23]
	v_mul_f64 v[94:95], v[96:97], s[28:29]
	;; [unrolled: 1-line block ×5, first 2 shown]
	v_add_f64 v[88:89], v[118:119], v[88:89]
	v_add_f64 v[90:91], v[108:109], v[90:91]
	v_mul_f64 v[52:53], v[62:63], s[24:25]
	v_fma_f64 v[128:129], v[48:49], s[16:17], -v[56:57]
	v_mul_f64 v[108:109], v[98:99], s[18:19]
	v_add_f64 v[110:111], v[120:121], v[110:111]
	v_fma_f64 v[120:121], v[50:51], s[16:17], v[58:59]
	v_add_f64 v[112:113], v[112:113], v[114:115]
	v_mul_f64 v[118:119], v[98:99], s[24:25]
	v_mul_f64 v[98:99], v[98:99], s[26:27]
	;; [unrolled: 1-line block ×3, first 2 shown]
	v_fma_f64 v[142:143], v[100:101], s[8:9], -v[92:93]
	v_fma_f64 v[146:147], v[100:101], s[14:15], -v[96:97]
	v_fma_f64 v[96:97], v[100:101], s[14:15], v[96:97]
	v_fma_f64 v[152:153], v[18:19], s[14:15], v[6:7]
	s_mov_b32 s27, 0x3fcea1e5
	v_add_f64 v[84:85], v[88:89], v[84:85]
	v_add_f64 v[86:87], v[90:91], v[86:87]
	v_fma_f64 v[144:145], v[8:9], s[20:21], -v[52:53]
	v_fma_f64 v[88:89], v[100:101], s[8:9], v[92:93]
	v_fma_f64 v[90:91], v[100:101], s[6:7], -v[94:95]
	v_add_f64 v[110:111], v[128:129], v[110:111]
	v_fma_f64 v[128:129], v[10:11], s[20:21], v[54:55]
	v_add_f64 v[112:113], v[120:121], v[112:113]
	v_fma_f64 v[92:93], v[100:101], s[6:7], v[94:95]
	v_fma_f64 v[94:95], v[100:101], s[16:17], -v[116:117]
	v_fma_f64 v[116:117], v[100:101], s[16:17], v[116:117]
	v_fma_f64 v[120:121], v[100:101], s[20:21], -v[122:123]
	v_fma_f64 v[122:123], v[100:101], s[20:21], v[122:123]
	v_fma_f64 v[100:101], v[104:105], s[8:9], v[124:125]
	v_fma_f64 v[124:125], v[104:105], s[8:9], -v[124:125]
	v_fma_f64 v[150:151], v[104:105], s[16:17], v[108:109]
	v_fma_f64 v[108:109], v[104:105], s[16:17], -v[108:109]
	v_add_f64 v[142:143], v[0:1], v[142:143]
	v_add_f64 v[146:147], v[0:1], v[146:147]
	v_add_f64 v[96:97], v[0:1], v[96:97]
	v_add_f64 v[80:81], v[84:85], v[80:81]
	v_add_f64 v[82:83], v[86:87], v[82:83]
	v_fma_f64 v[84:85], v[104:105], s[20:21], v[118:119]
	v_fma_f64 v[86:87], v[104:105], s[20:21], -v[118:119]
	v_fma_f64 v[118:119], v[104:105], s[14:15], v[98:99]
	v_fma_f64 v[98:99], v[104:105], s[14:15], -v[98:99]
	v_fma_f64 v[104:105], v[16:17], s[14:15], -v[4:5]
	v_add_f64 v[110:111], v[144:145], v[110:111]
	v_add_f64 v[112:113], v[128:129], v[112:113]
	v_fma_f64 v[144:145], v[14:15], s[16:17], -v[114:115]
	v_fma_f64 v[128:129], v[12:13], s[16:17], v[130:131]
	v_fma_f64 v[114:115], v[14:15], s[16:17], v[114:115]
	v_add_f64 v[88:89], v[0:1], v[88:89]
	v_add_f64 v[100:101], v[2:3], v[100:101]
	;; [unrolled: 1-line block ×11, first 2 shown]
	v_fma_f64 v[130:131], v[12:13], s[16:17], -v[130:131]
	v_add_f64 v[84:85], v[2:3], v[84:85]
	v_add_f64 v[86:87], v[2:3], v[86:87]
	;; [unrolled: 1-line block ×6, first 2 shown]
	v_fma_f64 v[104:105], v[12:13], s[14:15], v[136:137]
	v_fma_f64 v[110:111], v[14:15], s[14:15], v[134:135]
	v_fma_f64 v[112:113], v[12:13], s[14:15], -v[136:137]
	v_mul_f64 v[134:135], v[26:27], s[34:35]
	v_add_f64 v[136:137], v[144:145], v[142:143]
	v_add_f64 v[100:101], v[128:129], v[100:101]
	v_fma_f64 v[128:129], v[12:13], s[20:21], v[140:141]
	v_add_f64 v[88:89], v[114:115], v[88:89]
	v_fma_f64 v[114:115], v[22:23], s[14:15], -v[132:133]
	v_add_f64 v[90:91], v[156:157], v[90:91]
	v_fma_f64 v[144:145], v[20:21], s[14:15], v[154:155]
	v_fma_f64 v[132:133], v[22:23], s[14:15], v[132:133]
	v_fma_f64 v[152:153], v[20:21], s[14:15], -v[154:155]
	v_fma_f64 v[142:143], v[14:15], s[20:21], -v[138:139]
	v_add_f64 v[124:125], v[130:131], v[124:125]
	v_mul_f64 v[130:131], v[24:25], s[34:35]
	v_fma_f64 v[138:139], v[14:15], s[20:21], v[138:139]
	v_fma_f64 v[140:141], v[12:13], s[20:21], -v[140:141]
	v_add_f64 v[104:105], v[104:105], v[148:149]
	v_mul_f64 v[148:149], v[36:37], s[30:31]
	v_add_f64 v[92:93], v[110:111], v[92:93]
	v_mul_f64 v[110:111], v[28:29], s[30:31]
	v_add_f64 v[112:113], v[112:113], v[126:127]
	v_fma_f64 v[126:127], v[22:23], s[16:17], -v[134:135]
	s_mov_b32 s31, 0x3fefc445
	s_mov_b32 s30, s28
	v_add_f64 v[128:129], v[128:129], v[150:151]
	v_mul_f64 v[150:151], v[36:37], s[0:1]
	v_add_f64 v[114:115], v[114:115], v[136:137]
	v_fma_f64 v[134:135], v[22:23], s[16:17], v[134:135]
	v_add_f64 v[100:101], v[144:145], v[100:101]
	v_mul_f64 v[144:145], v[28:29], s[0:1]
	v_add_f64 v[88:89], v[132:133], v[88:89]
	v_fma_f64 v[136:137], v[20:21], s[16:17], v[130:131]
	v_fma_f64 v[130:131], v[20:21], s[16:17], -v[130:131]
	v_add_f64 v[124:125], v[152:153], v[124:125]
	v_add_f64 v[94:95], v[142:143], v[94:95]
	v_mul_f64 v[142:143], v[62:63], s[30:31]
	v_add_f64 v[116:117], v[138:139], v[116:117]
	v_add_f64 v[108:109], v[140:141], v[108:109]
	v_mul_f64 v[138:139], v[62:63], s[26:27]
	v_fma_f64 v[132:133], v[48:49], s[20:21], -v[148:149]
	v_fma_f64 v[148:149], v[48:49], s[20:21], v[148:149]
	v_fma_f64 v[152:153], v[50:51], s[20:21], v[110:111]
	v_fma_f64 v[110:111], v[50:51], s[20:21], -v[110:111]
	v_add_f64 v[90:91], v[126:127], v[90:91]
	v_mul_f64 v[126:127], v[60:61], s[30:31]
	v_mul_f64 v[140:141], v[60:61], s[26:27]
	v_add_f64 v[92:93], v[134:135], v[92:93]
	v_fma_f64 v[134:135], v[48:49], s[4:5], -v[150:151]
	v_fma_f64 v[150:151], v[48:49], s[4:5], v[150:151]
	v_add_f64 v[104:105], v[136:137], v[104:105]
	v_mul_f64 v[136:137], v[62:63], s[22:23]
	v_add_f64 v[112:113], v[130:131], v[112:113]
	v_fma_f64 v[130:131], v[50:51], s[4:5], v[144:145]
	v_fma_f64 v[144:145], v[50:51], s[4:5], -v[144:145]
	v_add_f64 v[114:115], v[132:133], v[114:115]
	v_add_f64 v[88:89], v[148:149], v[88:89]
	;; [unrolled: 1-line block ×4, first 2 shown]
	v_mul_f64 v[124:125], v[24:25], s[0:1]
	v_fma_f64 v[148:149], v[10:11], s[6:7], v[126:127]
	v_mul_f64 v[132:133], v[26:27], s[0:1]
	v_fma_f64 v[152:153], v[8:9], s[6:7], -v[142:143]
	v_fma_f64 v[142:143], v[8:9], s[6:7], v[142:143]
	v_fma_f64 v[126:127], v[10:11], s[6:7], -v[126:127]
	v_add_f64 v[90:91], v[134:135], v[90:91]
	v_add_f64 v[92:93], v[150:151], v[92:93]
	v_fma_f64 v[134:135], v[8:9], s[8:9], -v[136:137]
	v_fma_f64 v[136:137], v[8:9], s[8:9], v[136:137]
	v_add_f64 v[104:105], v[130:131], v[104:105]
	v_mul_f64 v[130:131], v[60:61], s[22:23]
	v_add_f64 v[112:113], v[144:145], v[112:113]
	v_add_f64 v[100:101], v[148:149], v[100:101]
	v_fma_f64 v[148:149], v[20:21], s[4:5], v[124:125]
	v_add_f64 v[114:115], v[152:153], v[114:115]
	v_fma_f64 v[152:153], v[22:23], s[4:5], -v[132:133]
	v_add_f64 v[88:89], v[142:143], v[88:89]
	v_mul_f64 v[142:143], v[36:37], s[28:29]
	v_add_f64 v[110:111], v[126:127], v[110:111]
	v_mul_f64 v[126:127], v[28:29], s[28:29]
	v_fma_f64 v[132:133], v[22:23], s[4:5], v[132:133]
	v_fma_f64 v[124:125], v[20:21], s[4:5], -v[124:125]
	v_add_f64 v[90:91], v[134:135], v[90:91]
	v_add_f64 v[92:93], v[136:137], v[92:93]
	v_mul_f64 v[136:137], v[26:27], s[22:23]
	v_fma_f64 v[134:135], v[10:11], s[8:9], v[130:131]
	v_fma_f64 v[130:131], v[10:11], s[8:9], -v[130:131]
	v_mul_f64 v[26:27], v[26:27], s[24:25]
	v_add_f64 v[128:129], v[148:149], v[128:129]
	v_mul_f64 v[148:149], v[38:39], s[30:31]
	v_add_f64 v[94:95], v[152:153], v[94:95]
	v_mul_f64 v[152:153], v[30:31], s[30:31]
	v_fma_f64 v[144:145], v[48:49], s[6:7], -v[142:143]
	v_fma_f64 v[142:143], v[48:49], s[6:7], v[142:143]
	v_fma_f64 v[150:151], v[50:51], s[6:7], v[126:127]
	v_add_f64 v[116:117], v[132:133], v[116:117]
	v_add_f64 v[108:109], v[124:125], v[108:109]
	v_fma_f64 v[126:127], v[50:51], s[6:7], -v[126:127]
	v_mul_f64 v[38:39], v[38:39], s[0:1]
	v_mul_f64 v[30:31], v[30:31], s[0:1]
	v_add_f64 v[104:105], v[134:135], v[104:105]
	v_add_f64 v[112:113], v[130:131], v[112:113]
	v_fma_f64 v[132:133], v[10:11], s[14:15], v[140:141]
	v_mul_f64 v[124:125], v[46:47], s[0:1]
	v_fma_f64 v[140:141], v[10:11], s[14:15], -v[140:141]
	v_fma_f64 v[130:131], v[14:15], s[6:7], -v[148:149]
	v_fma_f64 v[148:149], v[14:15], s[6:7], v[148:149]
	v_fma_f64 v[134:135], v[12:13], s[6:7], v[152:153]
	v_add_f64 v[94:95], v[144:145], v[94:95]
	v_mul_f64 v[144:145], v[24:25], s[22:23]
	v_mul_f64 v[24:25], v[24:25], s[24:25]
	v_add_f64 v[116:117], v[142:143], v[116:117]
	v_fma_f64 v[142:143], v[12:13], s[6:7], -v[152:153]
	v_add_f64 v[108:109], v[126:127], v[108:109]
	v_fma_f64 v[126:127], v[14:15], s[4:5], -v[38:39]
	v_fma_f64 v[38:39], v[14:15], s[4:5], v[38:39]
	v_fma_f64 v[14:15], v[14:15], s[8:9], v[40:41]
	s_mov_b32 s23, 0x3fea55e2
	v_add_f64 v[128:129], v[150:151], v[128:129]
	v_fma_f64 v[150:151], v[8:9], s[14:15], -v[138:139]
	v_mul_f64 v[40:41], v[46:47], s[22:23]
	v_fma_f64 v[138:139], v[8:9], s[14:15], v[138:139]
	v_fma_f64 v[152:153], v[16:17], s[4:5], -v[124:125]
	v_fma_f64 v[124:125], v[16:17], s[4:5], v[124:125]
	v_add_f64 v[120:121], v[130:131], v[120:121]
	v_fma_f64 v[130:131], v[22:23], s[8:9], -v[136:137]
	v_add_f64 v[84:85], v[134:135], v[84:85]
	v_add_f64 v[122:123], v[148:149], v[122:123]
	v_fma_f64 v[134:135], v[20:21], s[8:9], v[144:145]
	v_fma_f64 v[136:137], v[22:23], s[8:9], v[136:137]
	v_fma_f64 v[144:145], v[20:21], s[8:9], -v[144:145]
	v_add_f64 v[86:87], v[142:143], v[86:87]
	v_add_f64 v[126:127], v[126:127], v[146:147]
	v_mul_f64 v[146:147], v[28:29], s[26:27]
	v_add_f64 v[38:39], v[38:39], v[96:97]
	v_fma_f64 v[96:97], v[22:23], s[20:21], -v[26:27]
	v_mul_f64 v[28:29], v[28:29], s[22:23]
	v_fma_f64 v[26:27], v[22:23], s[20:21], v[26:27]
	v_add_f64 v[14:15], v[14:15], v[102:103]
	v_fma_f64 v[22:23], v[22:23], s[6:7], v[32:33]
	v_add_f64 v[94:95], v[150:151], v[94:95]
	v_mul_f64 v[150:151], v[44:45], s[0:1]
	v_add_f64 v[128:129], v[132:133], v[128:129]
	v_mul_f64 v[132:133], v[46:47], s[24:25]
	v_mul_f64 v[32:33], v[44:45], s[22:23]
	v_fma_f64 v[102:103], v[16:17], s[8:9], -v[40:41]
	v_add_f64 v[120:121], v[130:131], v[120:121]
	v_fma_f64 v[130:131], v[12:13], s[4:5], v[30:31]
	v_fma_f64 v[30:31], v[12:13], s[4:5], -v[30:31]
	v_fma_f64 v[12:13], v[12:13], s[8:9], -v[42:43]
	v_mul_f64 v[42:43], v[36:37], s[26:27]
	v_mul_f64 v[36:37], v[36:37], s[22:23]
	v_add_f64 v[84:85], v[134:135], v[84:85]
	v_add_f64 v[122:123], v[136:137], v[122:123]
	v_mul_f64 v[136:137], v[62:63], s[0:1]
	v_add_f64 v[86:87], v[144:145], v[86:87]
	v_mul_f64 v[144:145], v[60:61], s[0:1]
	v_add_f64 v[96:97], v[96:97], v[126:127]
	v_fma_f64 v[126:127], v[50:51], s[8:9], v[28:29]
	v_mul_f64 v[62:63], v[62:63], s[18:19]
	v_mul_f64 v[60:61], v[60:61], s[18:19]
	v_add_f64 v[26:27], v[26:27], v[38:39]
	v_fma_f64 v[28:29], v[50:51], s[8:9], -v[28:29]
	v_add_f64 v[14:15], v[22:23], v[14:15]
	v_fma_f64 v[22:23], v[50:51], s[16:17], -v[58:59]
	v_mul_f64 v[134:135], v[44:45], s[24:25]
	v_fma_f64 v[148:149], v[18:19], s[4:5], v[150:151]
	v_fma_f64 v[142:143], v[16:17], s[20:21], -v[132:133]
	v_fma_f64 v[40:41], v[16:17], s[8:9], v[40:41]
	v_add_f64 v[118:119], v[130:131], v[118:119]
	v_add_f64 v[30:31], v[30:31], v[98:99]
	v_fma_f64 v[98:99], v[20:21], s[20:21], v[24:25]
	v_fma_f64 v[24:25], v[20:21], s[20:21], -v[24:25]
	v_add_f64 v[12:13], v[12:13], v[106:107]
	v_fma_f64 v[20:21], v[20:21], s[6:7], -v[34:35]
	v_fma_f64 v[106:107], v[48:49], s[14:15], -v[42:43]
	v_fma_f64 v[34:35], v[50:51], s[14:15], v[146:147]
	v_fma_f64 v[42:43], v[48:49], s[14:15], v[42:43]
	v_fma_f64 v[146:147], v[50:51], s[14:15], -v[146:147]
	v_fma_f64 v[38:39], v[8:9], s[4:5], -v[136:137]
	v_mul_f64 v[50:51], v[46:47], s[18:19]
	v_mul_f64 v[46:47], v[46:47], s[30:31]
	v_fma_f64 v[132:133], v[16:17], s[20:21], v[132:133]
	v_fma_f64 v[150:151], v[18:19], s[4:5], -v[150:151]
	v_cmp_gt_u32_e64 s0, 16, v66
	v_fma_f64 v[130:131], v[18:19], s[20:21], v[134:135]
	v_fma_f64 v[134:135], v[18:19], s[20:21], -v[134:135]
	v_add_f64 v[98:99], v[98:99], v[118:119]
	v_fma_f64 v[118:119], v[48:49], s[8:9], -v[36:37]
	v_add_f64 v[24:25], v[24:25], v[30:31]
	v_fma_f64 v[30:31], v[48:49], s[8:9], v[36:37]
	v_add_f64 v[12:13], v[20:21], v[12:13]
	v_fma_f64 v[20:21], v[48:49], s[16:17], v[56:57]
	v_add_f64 v[36:37], v[106:107], v[120:121]
	v_add_f64 v[34:35], v[34:35], v[84:85]
	v_fma_f64 v[48:49], v[10:11], s[4:5], v[144:145]
	v_mul_f64 v[56:57], v[44:45], s[18:19]
	v_add_f64 v[42:43], v[42:43], v[122:123]
	v_add_f64 v[58:59], v[146:147], v[86:87]
	v_fma_f64 v[84:85], v[8:9], s[4:5], v[136:137]
	v_fma_f64 v[86:87], v[10:11], s[4:5], -v[144:145]
	v_fma_f64 v[106:107], v[8:9], s[16:17], -v[62:63]
	v_mul_f64 v[44:45], v[44:45], s[30:31]
	v_add_f64 v[98:99], v[126:127], v[98:99]
	v_add_f64 v[96:97], v[118:119], v[96:97]
	v_fma_f64 v[118:119], v[10:11], s[16:17], v[60:61]
	v_add_f64 v[26:27], v[30:31], v[26:27]
	v_add_f64 v[24:25], v[28:29], v[24:25]
	v_fma_f64 v[28:29], v[8:9], s[16:17], v[62:63]
	v_fma_f64 v[30:31], v[10:11], s[16:17], -v[60:61]
	v_add_f64 v[14:15], v[20:21], v[14:15]
	v_add_f64 v[12:13], v[22:23], v[12:13]
	v_fma_f64 v[8:9], v[8:9], s[20:21], v[52:53]
	v_fma_f64 v[10:11], v[10:11], s[20:21], -v[54:55]
	v_fma_f64 v[60:61], v[18:19], s[8:9], v[32:33]
	v_fma_f64 v[62:63], v[18:19], s[8:9], -v[32:33]
	v_add_f64 v[32:33], v[38:39], v[36:37]
	v_add_f64 v[34:35], v[48:49], v[34:35]
	v_fma_f64 v[36:37], v[16:17], s[16:17], -v[50:51]
	v_fma_f64 v[38:39], v[18:19], s[16:17], v[56:57]
	v_add_f64 v[52:53], v[138:139], v[116:117]
	v_add_f64 v[42:43], v[84:85], v[42:43]
	;; [unrolled: 1-line block ×3, first 2 shown]
	v_fma_f64 v[50:51], v[16:17], s[16:17], v[50:51]
	v_fma_f64 v[86:87], v[16:17], s[6:7], -v[46:47]
	v_fma_f64 v[56:57], v[18:19], s[16:17], -v[56:57]
	v_add_f64 v[58:59], v[106:107], v[96:97]
	v_add_f64 v[84:85], v[118:119], v[98:99]
	v_fma_f64 v[96:97], v[18:19], s[6:7], v[44:45]
	v_add_f64 v[54:55], v[140:141], v[108:109]
	v_add_f64 v[26:27], v[28:29], v[26:27]
	;; [unrolled: 1-line block ×3, first 2 shown]
	v_fma_f64 v[30:31], v[16:17], s[6:7], v[46:47]
	v_fma_f64 v[46:47], v[18:19], s[6:7], -v[44:45]
	v_add_f64 v[98:99], v[8:9], v[14:15]
	v_add_f64 v[106:107], v[10:11], v[12:13]
	v_fma_f64 v[108:109], v[16:17], s[14:15], v[4:5]
	v_fma_f64 v[116:117], v[18:19], s[14:15], -v[6:7]
	v_add_f64 v[4:5], v[152:153], v[114:115]
	v_add_f64 v[6:7], v[148:149], v[100:101]
	;; [unrolled: 1-line block ×22, first 2 shown]
	v_mad_u32_u24 v48, 0xc0, v66, v72
	ds_write_b128 v48, v[80:83]
	ds_write_b128 v48, v[0:3] offset:16
	ds_write_b128 v48, v[4:7] offset:32
	;; [unrolled: 1-line block ×12, first 2 shown]
	v_lshl_add_u32 v83, v76, 4, v78
	v_lshl_add_u32 v82, v75, 4, v78
	;; [unrolled: 1-line block ×3, first 2 shown]
	s_waitcnt lgkmcnt(0)
	s_barrier
	buffer_gl0_inv
	ds_read_b128 v[0:3], v79
	ds_read_b128 v[4:7], v72 offset:3328
	v_lshl_add_u32 v84, v71, 4, v78
	ds_read_b128 v[12:15], v72 offset:3840
	ds_read_b128 v[8:11], v72 offset:4352
	v_lshl_add_u32 v80, v73, 4, v78
	ds_read_b128 v[20:23], v83
	ds_read_b128 v[36:39], v82
	ds_read_b128 v[24:27], v72 offset:4864
	ds_read_b128 v[16:19], v72 offset:5376
	ds_read_b128 v[56:59], v81
	ds_read_b128 v[52:55], v80
	;; [unrolled: 1-line block ×3, first 2 shown]
	ds_read_b128 v[32:35], v72 offset:5888
                                        ; implicit-def: $vgpr42_vgpr43
	s_and_saveexec_b32 s1, s0
	s_cbranch_execz .LBB0_15
; %bb.14:
	v_lshlrev_b32_e32 v28, 4, v70
	v_add3_u32 v28, 0, v28, v77
	ds_read_b128 v[28:31], v28
	ds_read_b128 v[40:43], v72 offset:6400
.LBB0_15:
	s_or_b32 exec_lo, exec_lo, s1
	v_and_b32_e32 v49, 0xff, v71
	v_and_b32_e32 v48, 0xff, v66
	;; [unrolled: 1-line block ×5, first 2 shown]
	v_mul_lo_u16 v49, 0x4f, v49
	v_mul_lo_u16 v48, 0x4f, v48
	v_and_b32_e32 v62, 0xff, v73
	v_mov_b32_e32 v61, 4
	v_mul_lo_u16 v60, 0x4f, v60
	v_lshrrev_b16 v122, 10, v49
	v_mul_lo_u16 v49, 0x4f, v50
	v_lshrrev_b16 v121, 10, v48
	v_and_b32_e32 v48, 0xff, v70
	v_mul_lo_u16 v50, 0x4f, v51
	v_mul_lo_u16 v62, 0x4f, v62
	v_lshrrev_b16 v123, 10, v49
	v_mul_lo_u16 v51, v121, 13
	v_mul_lo_u16 v63, v122, 13
	;; [unrolled: 1-line block ×3, first 2 shown]
	v_lshrrev_b16 v124, 10, v50
	v_lshrrev_b16 v125, 10, v60
	;; [unrolled: 1-line block ×3, first 2 shown]
	v_mul_lo_u16 v62, v123, 13
	v_sub_nc_u16 v48, v66, v51
	v_sub_nc_u16 v51, v71, v63
	v_mul_lo_u16 v63, v124, 13
	v_lshrrev_b16 v60, 10, v89
	v_mul_lo_u16 v89, v125, 13
	v_sub_nc_u16 v62, v76, v62
	v_mul_lo_u16 v90, v128, 13
	v_sub_nc_u16 v63, v75, v63
	;; [unrolled: 2-line block ×3, first 2 shown]
	v_lshlrev_b32_sdwa v129, v61, v62 dst_sel:DWORD dst_unused:UNUSED_PAD src0_sel:DWORD src1_sel:BYTE_0
	v_sub_nc_u16 v62, v73, v90
	v_lshlrev_b32_sdwa v130, v61, v63 dst_sel:DWORD dst_unused:UNUSED_PAD src0_sel:DWORD src1_sel:BYTE_0
	v_sub_nc_u16 v63, v70, v91
	v_lshlrev_b32_sdwa v126, v61, v48 dst_sel:DWORD dst_unused:UNUSED_PAD src0_sel:DWORD src1_sel:BYTE_0
	v_lshlrev_b32_sdwa v131, v61, v89 dst_sel:DWORD dst_unused:UNUSED_PAD src0_sel:DWORD src1_sel:BYTE_0
	;; [unrolled: 1-line block ×5, first 2 shown]
	s_clause 0x6
	global_load_dwordx4 v[48:51], v126, s[12:13]
	global_load_dwordx4 v[85:88], v127, s[12:13]
	;; [unrolled: 1-line block ×7, first 2 shown]
	s_waitcnt vmcnt(0) lgkmcnt(0)
	s_barrier
	buffer_gl0_inv
	v_mul_f64 v[62:63], v[6:7], v[50:51]
	v_mul_f64 v[50:51], v[4:5], v[50:51]
	;; [unrolled: 1-line block ×14, first 2 shown]
	v_fma_f64 v[4:5], v[4:5], v[48:49], -v[62:63]
	v_fma_f64 v[6:7], v[6:7], v[48:49], v[50:51]
	v_fma_f64 v[12:13], v[12:13], v[85:86], -v[109:110]
	v_fma_f64 v[14:15], v[14:15], v[85:86], v[87:88]
	;; [unrolled: 2-line block ×7, first 2 shown]
	v_and_b32_e32 v87, 0xffff, v121
	v_and_b32_e32 v88, 0xffff, v122
	;; [unrolled: 1-line block ×4, first 2 shown]
	v_add_f64 v[4:5], v[0:1], -v[4:5]
	v_add_f64 v[6:7], v[2:3], -v[6:7]
	;; [unrolled: 1-line block ×14, first 2 shown]
	v_and_b32_e32 v48, 0xffff, v125
	v_and_b32_e32 v49, 0xffff, v128
	v_mad_u32_u24 v62, 0x1a0, v87, 0
	v_mad_u32_u24 v63, 0x1a0, v88, 0
	;; [unrolled: 1-line block ×6, first 2 shown]
	v_fma_f64 v[0:1], v[0:1], 2.0, -v[4:5]
	v_fma_f64 v[2:3], v[2:3], 2.0, -v[6:7]
	;; [unrolled: 1-line block ×14, first 2 shown]
	v_add3_u32 v56, v62, v126, v77
	v_add3_u32 v57, v63, v127, v77
	;; [unrolled: 1-line block ×6, first 2 shown]
	ds_write_b128 v56, v[4:7] offset:208
	ds_write_b128 v56, v[0:3]
	ds_write_b128 v57, v[44:47]
	ds_write_b128 v57, v[8:11] offset:208
	ds_write_b128 v58, v[20:23]
	ds_write_b128 v58, v[12:15] offset:208
	;; [unrolled: 2-line block ×5, first 2 shown]
	s_and_saveexec_b32 s1, s0
	s_cbranch_execz .LBB0_17
; %bb.16:
	v_and_b32_e32 v56, 0xffff, v60
	v_mad_u32_u24 v56, 0x1a0, v56, 0
	v_add3_u32 v56, v56, v61, v77
	ds_write_b128 v56, v[28:31]
	ds_write_b128 v56, v[40:43] offset:208
.LBB0_17:
	s_or_b32 exec_lo, exec_lo, s1
	v_cmp_gt_u32_e64 s0, 26, v66
	s_waitcnt lgkmcnt(0)
	s_barrier
	buffer_gl0_inv
                                        ; implicit-def: $vgpr62_vgpr63
                                        ; implicit-def: $vgpr58_vgpr59
	s_and_saveexec_b32 s1, s0
	s_cbranch_execz .LBB0_19
; %bb.18:
	ds_read_b128 v[0:3], v79
	ds_read_b128 v[4:7], v72 offset:416
	ds_read_b128 v[44:47], v72 offset:832
	;; [unrolled: 1-line block ×15, first 2 shown]
.LBB0_19:
	s_or_b32 exec_lo, exec_lo, s1
	s_waitcnt lgkmcnt(0)
	s_barrier
	buffer_gl0_inv
	s_and_saveexec_b32 s8, s0
	s_cbranch_execz .LBB0_21
; %bb.20:
	v_subrev_nc_u32_e32 v77, 26, v66
	v_mov_b32_e32 v86, 0
	s_mov_b32 s5, 0xbfe6a09e
	s_mov_b32 s6, 0xcf328d46
	;; [unrolled: 1-line block ×3, first 2 shown]
	v_cndmask_b32_e64 v77, v77, v66, s0
	s_mov_b32 s14, 0xa6aea964
	s_mov_b32 s15, 0x3fd87de2
	;; [unrolled: 1-line block ×4, first 2 shown]
	v_mul_i32_i24_e32 v85, 15, v77
	s_mov_b32 s19, 0xbfed906b
	s_mov_b32 s18, s6
	v_lshlrev_b64 v[85:86], 4, v[85:86]
	v_add_co_u32 v141, s0, s12, v85
	v_add_co_ci_u32_e64 v142, s0, s13, v86, s0
	s_mov_b32 s0, 0x667f3bcd
	s_mov_b32 s1, 0x3fe6a09e
	s_mov_b32 s4, s0
	s_clause 0xe
	global_load_dwordx4 v[85:88], v[141:142], off offset:224
	global_load_dwordx4 v[89:92], v[141:142], off offset:352
	;; [unrolled: 1-line block ×15, first 2 shown]
	s_waitcnt vmcnt(14)
	v_mul_f64 v[145:146], v[46:47], v[87:88]
	v_mul_f64 v[87:88], v[44:45], v[87:88]
	s_waitcnt vmcnt(13)
	v_mul_f64 v[147:148], v[54:55], v[91:92]
	v_mul_f64 v[91:92], v[52:53], v[91:92]
	;; [unrolled: 3-line block ×4, first 2 shown]
	s_waitcnt vmcnt(10)
	v_mul_f64 v[153:154], v[22:23], v[103:104]
	s_waitcnt vmcnt(9)
	v_mul_f64 v[155:156], v[30:31], v[107:108]
	;; [unrolled: 2-line block ×3, first 2 shown]
	v_mul_f64 v[111:112], v[8:9], v[111:112]
	s_waitcnt vmcnt(7)
	v_mul_f64 v[159:160], v[36:37], v[115:116]
	s_waitcnt vmcnt(6)
	v_mul_f64 v[161:162], v[6:7], v[119:120]
	s_waitcnt vmcnt(2)
	v_mul_f64 v[163:164], v[34:35], v[135:136]
	v_mul_f64 v[135:136], v[32:33], v[135:136]
	;; [unrolled: 1-line block ×4, first 2 shown]
	v_fma_f64 v[44:45], v[44:45], v[85:86], -v[145:146]
	v_fma_f64 v[46:47], v[46:47], v[85:86], v[87:88]
	v_mul_f64 v[85:86], v[26:27], v[123:124]
	v_mul_f64 v[87:88], v[12:13], v[127:128]
	;; [unrolled: 1-line block ×3, first 2 shown]
	v_fma_f64 v[52:53], v[52:53], v[89:90], -v[147:148]
	v_fma_f64 v[54:55], v[54:55], v[89:90], v[91:92]
	s_waitcnt vmcnt(1)
	v_mul_f64 v[89:90], v[16:17], v[139:140]
	s_waitcnt vmcnt(0)
	v_mul_f64 v[91:92], v[56:57], v[143:144]
	v_mul_f64 v[139:140], v[18:19], v[139:140]
	v_fma_f64 v[50:51], v[50:51], v[93:94], v[149:150]
	v_fma_f64 v[48:49], v[48:49], v[93:94], -v[95:96]
	v_mul_f64 v[93:94], v[58:59], v[143:144]
	v_mul_f64 v[95:96], v[4:5], v[119:120]
	;; [unrolled: 1-line block ×4, first 2 shown]
	v_fma_f64 v[62:63], v[62:63], v[97:98], v[151:152]
	v_fma_f64 v[60:61], v[60:61], v[97:98], -v[99:100]
	v_mul_f64 v[97:98], v[42:43], v[131:132]
	v_mul_f64 v[99:100], v[38:39], v[115:116]
	v_fma_f64 v[8:9], v[8:9], v[109:110], -v[157:158]
	v_fma_f64 v[10:11], v[10:11], v[109:110], v[111:112]
	v_fma_f64 v[20:21], v[20:21], v[101:102], -v[153:154]
	v_fma_f64 v[28:29], v[28:29], v[105:106], -v[155:156]
	v_fma_f64 v[38:39], v[38:39], v[113:114], v[159:160]
	v_fma_f64 v[4:5], v[4:5], v[117:118], -v[161:162]
	v_fma_f64 v[24:25], v[24:25], v[121:122], -v[85:86]
	v_fma_f64 v[14:15], v[14:15], v[125:126], v[87:88]
	v_fma_f64 v[42:43], v[42:43], v[129:130], v[145:146]
	v_fma_f64 v[32:33], v[32:33], v[133:134], -v[163:164]
	v_fma_f64 v[18:19], v[18:19], v[137:138], v[89:90]
	v_fma_f64 v[58:59], v[58:59], v[141:142], v[91:92]
	;; [unrolled: 1-line block ×3, first 2 shown]
	v_fma_f64 v[16:17], v[16:17], v[137:138], -v[139:140]
	v_fma_f64 v[56:57], v[56:57], v[141:142], -v[93:94]
	v_fma_f64 v[6:7], v[6:7], v[117:118], v[95:96]
	v_fma_f64 v[26:27], v[26:27], v[121:122], v[119:120]
	v_fma_f64 v[12:13], v[12:13], v[125:126], -v[123:124]
	v_fma_f64 v[22:23], v[22:23], v[101:102], v[103:104]
	v_fma_f64 v[30:31], v[30:31], v[105:106], v[107:108]
	v_fma_f64 v[40:41], v[40:41], v[129:130], -v[97:98]
	v_fma_f64 v[36:37], v[36:37], v[113:114], -v[99:100]
	v_add_f64 v[52:53], v[44:45], -v[52:53]
	v_add_f64 v[62:63], v[50:51], -v[62:63]
	v_add_f64 v[54:55], v[46:47], -v[54:55]
	v_add_f64 v[60:61], v[48:49], -v[60:61]
	v_add_f64 v[28:29], v[20:21], -v[28:29]
	v_add_f64 v[38:39], v[2:3], -v[38:39]
	v_add_f64 v[24:25], v[4:5], -v[24:25]
	v_add_f64 v[42:43], v[14:15], -v[42:43]
	v_add_f64 v[32:33], v[8:9], -v[32:33]
	v_add_f64 v[58:59], v[18:19], -v[58:59]
	v_add_f64 v[34:35], v[10:11], -v[34:35]
	v_add_f64 v[56:57], v[16:17], -v[56:57]
	v_add_f64 v[26:27], v[6:7], -v[26:27]
	v_add_f64 v[30:31], v[22:23], -v[30:31]
	v_add_f64 v[40:41], v[12:13], -v[40:41]
	v_add_f64 v[36:37], v[0:1], -v[36:37]
	v_fma_f64 v[44:45], v[44:45], 2.0, -v[52:53]
	v_add_f64 v[85:86], v[52:53], -v[62:63]
	v_add_f64 v[87:88], v[54:55], v[60:61]
	v_fma_f64 v[20:21], v[20:21], 2.0, -v[28:29]
	v_add_f64 v[89:90], v[38:39], v[28:29]
	v_fma_f64 v[2:3], v[2:3], 2.0, -v[38:39]
	v_fma_f64 v[4:5], v[4:5], 2.0, -v[24:25]
	v_add_f64 v[91:92], v[24:25], -v[42:43]
	v_fma_f64 v[8:9], v[8:9], 2.0, -v[32:33]
	v_fma_f64 v[28:29], v[48:49], 2.0, -v[60:61]
	v_add_f64 v[93:94], v[32:33], -v[58:59]
	v_fma_f64 v[10:11], v[10:11], 2.0, -v[34:35]
	v_fma_f64 v[14:15], v[14:15], 2.0, -v[42:43]
	v_add_f64 v[95:96], v[34:35], v[56:57]
	v_fma_f64 v[16:17], v[16:17], 2.0, -v[56:57]
	v_fma_f64 v[6:7], v[6:7], 2.0, -v[26:27]
	;; [unrolled: 1-line block ×4, first 2 shown]
	v_add_f64 v[97:98], v[26:27], v[40:41]
	v_add_f64 v[99:100], v[36:37], -v[30:31]
	v_fma_f64 v[12:13], v[12:13], 2.0, -v[40:41]
	v_fma_f64 v[30:31], v[46:47], 2.0, -v[54:55]
	;; [unrolled: 1-line block ×7, first 2 shown]
	v_fma_f64 v[48:49], v[87:88], s[0:1], v[89:90]
	v_fma_f64 v[24:25], v[24:25], 2.0, -v[91:92]
	v_add_f64 v[28:29], v[44:45], -v[28:29]
	v_fma_f64 v[32:33], v[32:33], 2.0, -v[93:94]
	v_fma_f64 v[52:53], v[93:94], s[0:1], v[91:92]
	v_fma_f64 v[34:35], v[34:35], 2.0, -v[95:96]
	v_add_f64 v[16:17], v[8:9], -v[16:17]
	v_add_f64 v[14:15], v[6:7], -v[14:15]
	;; [unrolled: 1-line block ×4, first 2 shown]
	v_fma_f64 v[26:27], v[26:27], 2.0, -v[97:98]
	v_fma_f64 v[36:37], v[36:37], 2.0, -v[99:100]
	v_add_f64 v[12:13], v[4:5], -v[12:13]
	v_fma_f64 v[50:51], v[95:96], s[0:1], v[97:98]
	v_add_f64 v[40:41], v[30:31], -v[40:41]
	v_add_f64 v[20:21], v[0:1], -v[20:21]
	v_fma_f64 v[54:55], v[85:86], s[0:1], v[99:100]
	v_fma_f64 v[56:57], v[46:47], s[4:5], v[38:39]
	;; [unrolled: 1-line block ×3, first 2 shown]
	v_fma_f64 v[44:45], v[44:45], 2.0, -v[28:29]
	v_fma_f64 v[58:59], v[32:33], s[4:5], v[24:25]
	v_fma_f64 v[8:9], v[8:9], 2.0, -v[16:17]
	v_add_f64 v[16:17], v[14:15], v[16:17]
	v_fma_f64 v[6:7], v[6:7], 2.0, -v[14:15]
	v_fma_f64 v[10:11], v[10:11], 2.0, -v[18:19]
	;; [unrolled: 1-line block ×3, first 2 shown]
	v_fma_f64 v[60:61], v[34:35], s[4:5], v[26:27]
	v_fma_f64 v[62:63], v[42:43], s[4:5], v[36:37]
	v_fma_f64 v[4:5], v[4:5], 2.0, -v[12:13]
	v_fma_f64 v[50:51], v[93:94], s[0:1], v[50:51]
	v_fma_f64 v[30:31], v[30:31], 2.0, -v[40:41]
	v_fma_f64 v[0:1], v[0:1], 2.0, -v[20:21]
	v_add_f64 v[85:86], v[22:23], v[28:29]
	v_fma_f64 v[28:29], v[95:96], s[4:5], v[52:53]
	v_fma_f64 v[52:53], v[87:88], s[4:5], v[54:55]
	v_add_f64 v[18:19], v[12:13], -v[18:19]
	v_add_f64 v[54:55], v[20:21], -v[40:41]
	v_fma_f64 v[56:57], v[42:43], s[0:1], v[56:57]
	v_fma_f64 v[34:35], v[34:35], s[4:5], v[58:59]
	v_fma_f64 v[58:59], v[89:90], 2.0, -v[48:49]
	v_fma_f64 v[42:43], v[14:15], 2.0, -v[16:17]
	v_add_f64 v[14:15], v[6:7], -v[10:11]
	v_fma_f64 v[32:33], v[32:33], s[0:1], v[60:61]
	v_fma_f64 v[60:61], v[46:47], s[4:5], v[62:63]
	v_add_f64 v[8:9], v[4:5], -v[8:9]
	v_fma_f64 v[10:11], v[50:51], s[6:7], v[48:49]
	v_add_f64 v[40:41], v[2:3], -v[30:31]
	v_add_f64 v[44:45], v[0:1], -v[44:45]
	v_fma_f64 v[30:31], v[97:98], 2.0, -v[50:51]
	v_fma_f64 v[62:63], v[22:23], 2.0, -v[85:86]
	;; [unrolled: 1-line block ×8, first 2 shown]
	v_fma_f64 v[20:21], v[16:17], s[0:1], v[85:86]
	v_fma_f64 v[24:25], v[28:29], s[6:7], v[52:53]
	v_fma_f64 v[101:102], v[6:7], 2.0, -v[14:15]
	v_fma_f64 v[46:47], v[26:27], 2.0, -v[32:33]
	;; [unrolled: 1-line block ×3, first 2 shown]
	v_fma_f64 v[26:27], v[18:19], s[0:1], v[54:55]
	v_fma_f64 v[36:37], v[32:33], s[14:15], v[56:57]
	v_fma_f64 v[99:100], v[2:3], 2.0, -v[40:41]
	v_fma_f64 v[103:104], v[0:1], 2.0, -v[44:45]
	v_fma_f64 v[95:96], v[30:31], s[16:17], v[58:59]
	v_fma_f64 v[105:106], v[4:5], 2.0, -v[8:9]
	v_fma_f64 v[97:98], v[42:43], s[4:5], v[62:63]
	v_fma_f64 v[111:112], v[34:35], s[14:15], v[60:61]
	;; [unrolled: 1-line block ×5, first 2 shown]
	v_add_f64 v[10:11], v[40:41], v[8:9]
	v_add_f64 v[8:9], v[44:45], -v[14:15]
	v_fma_f64 v[6:7], v[18:19], s[0:1], v[20:21]
	v_fma_f64 v[0:1], v[50:51], s[16:17], v[24:25]
	;; [unrolled: 1-line block ×6, first 2 shown]
	v_add_f64 v[26:27], v[99:100], -v[101:102]
	v_fma_f64 v[18:19], v[22:23], s[6:7], v[95:96]
	v_add_f64 v[24:25], v[103:104], -v[105:106]
	v_fma_f64 v[22:23], v[12:13], s[0:1], v[97:98]
	v_fma_f64 v[12:13], v[32:33], s[18:19], v[111:112]
	;; [unrolled: 1-line block ×4, first 2 shown]
	v_fma_f64 v[34:35], v[48:49], 2.0, -v[2:3]
	v_fma_f64 v[42:43], v[40:41], 2.0, -v[10:11]
	;; [unrolled: 1-line block ×4, first 2 shown]
	v_fma_f64 v[30:31], v[38:39], s[14:15], v[113:114]
	v_fma_f64 v[28:29], v[46:47], s[16:17], v[115:116]
	v_fma_f64 v[38:39], v[85:86], 2.0, -v[6:7]
	v_fma_f64 v[36:37], v[54:55], 2.0, -v[4:5]
	;; [unrolled: 1-line block ×12, first 2 shown]
	ds_write_b128 v72, v[8:11] offset:4992
	ds_write_b128 v72, v[4:7] offset:5824
	;; [unrolled: 1-line block ×9, first 2 shown]
	ds_write_b128 v79, v[56:59]
	ds_write_b128 v72, v[52:55] offset:832
	ds_write_b128 v72, v[48:51] offset:1248
	ds_write_b128 v72, v[44:47] offset:2080
	ds_write_b128 v72, v[28:31] offset:3744
	ds_write_b128 v72, v[60:63] offset:416
	ds_write_b128 v72, v[0:3] offset:6240
.LBB0_21:
	s_or_b32 exec_lo, exec_lo, s8
	s_waitcnt lgkmcnt(0)
	s_barrier
	buffer_gl0_inv
	ds_read_b128 v[4:7], v79
	v_sub_nc_u32_e32 v10, v78, v67
	s_add_u32 s1, s12, 0x1930
	s_addc_u32 s4, s13, 0
	s_mov_b32 s5, exec_lo
                                        ; implicit-def: $vgpr2_vgpr3
                                        ; implicit-def: $vgpr8_vgpr9
	v_cmpx_ne_u32_e32 0, v66
	s_xor_b32 s5, exec_lo, s5
	s_cbranch_execz .LBB0_23
; %bb.22:
	v_mov_b32_e32 v67, 0
	v_lshlrev_b64 v[0:1], 4, v[66:67]
	v_add_co_u32 v0, s0, s1, v0
	v_add_co_ci_u32_e64 v1, s0, s4, v1, s0
	global_load_dwordx4 v[11:14], v[0:1], off
	ds_read_b128 v[0:3], v10 offset:6656
	s_waitcnt lgkmcnt(0)
	v_add_f64 v[8:9], v[4:5], -v[0:1]
	v_add_f64 v[15:16], v[6:7], v[2:3]
	v_add_f64 v[2:3], v[6:7], -v[2:3]
	v_add_f64 v[0:1], v[4:5], v[0:1]
	v_mul_f64 v[6:7], v[8:9], 0.5
	v_mul_f64 v[4:5], v[15:16], 0.5
	;; [unrolled: 1-line block ×3, first 2 shown]
	s_waitcnt vmcnt(0)
	v_mul_f64 v[8:9], v[6:7], v[13:14]
	v_fma_f64 v[15:16], v[4:5], v[13:14], v[2:3]
	v_fma_f64 v[2:3], v[4:5], v[13:14], -v[2:3]
	v_fma_f64 v[17:18], v[0:1], 0.5, v[8:9]
	v_fma_f64 v[0:1], v[0:1], 0.5, -v[8:9]
	v_fma_f64 v[8:9], -v[11:12], v[6:7], v[15:16]
	v_fma_f64 v[2:3], -v[11:12], v[6:7], v[2:3]
	v_fma_f64 v[13:14], v[4:5], v[11:12], v[17:18]
	v_fma_f64 v[0:1], -v[4:5], v[11:12], v[0:1]
                                        ; implicit-def: $vgpr4_vgpr5
	ds_write_b64 v79, v[13:14]
.LBB0_23:
	s_andn2_saveexec_b32 s0, s5
	s_cbranch_execz .LBB0_25
; %bb.24:
	ds_read_b64 v[11:12], v78 offset:3336
	s_waitcnt lgkmcnt(1)
	v_add_f64 v[13:14], v[4:5], v[6:7]
	v_add_f64 v[0:1], v[4:5], -v[6:7]
	v_mov_b32_e32 v8, 0
	v_mov_b32_e32 v9, 0
	;; [unrolled: 1-line block ×4, first 2 shown]
	s_waitcnt lgkmcnt(0)
	v_xor_b32_e32 v12, 0x80000000, v12
	ds_write_b64 v79, v[13:14]
	ds_write_b64 v78, v[11:12] offset:3336
.LBB0_25:
	s_or_b32 exec_lo, exec_lo, s0
	v_mov_b32_e32 v72, 0
	ds_write_b64 v79, v[8:9] offset:8
	ds_write_b128 v10, v[0:3] offset:6656
	s_mov_b32 s5, exec_lo
	s_waitcnt lgkmcnt(2)
	v_lshlrev_b64 v[4:5], 4, v[71:72]
	v_mov_b32_e32 v77, v72
	v_lshlrev_b64 v[11:12], 4, v[76:77]
	v_add_co_u32 v4, s0, s1, v4
	v_add_co_ci_u32_e64 v5, s0, s4, v5, s0
	v_mov_b32_e32 v76, v72
	v_add_co_u32 v11, s0, s1, v11
	global_load_dwordx4 v[4:7], v[4:5], off
	v_add_co_ci_u32_e64 v12, s0, s4, v12, s0
	v_lshlrev_b64 v[8:9], 4, v[75:76]
	v_mov_b32_e32 v75, v72
	global_load_dwordx4 v[11:14], v[11:12], off
	ds_read_b128 v[0:3], v84
	ds_read_b128 v[15:18], v10 offset:6144
	v_add_co_u32 v8, s0, s1, v8
	v_add_co_ci_u32_e64 v9, s0, s4, v9, s0
	global_load_dwordx4 v[19:22], v[8:9], off
	s_waitcnt lgkmcnt(0)
	v_add_f64 v[8:9], v[0:1], -v[15:16]
	v_add_f64 v[23:24], v[2:3], v[17:18]
	v_add_f64 v[2:3], v[2:3], -v[17:18]
	v_add_f64 v[0:1], v[0:1], v[15:16]
	v_mul_f64 v[8:9], v[8:9], 0.5
	v_mul_f64 v[17:18], v[23:24], 0.5
	;; [unrolled: 1-line block ×3, first 2 shown]
	s_waitcnt vmcnt(2)
	v_mul_f64 v[15:16], v[8:9], v[6:7]
	v_fma_f64 v[23:24], v[17:18], v[6:7], v[2:3]
	v_fma_f64 v[6:7], v[17:18], v[6:7], -v[2:3]
	v_fma_f64 v[25:26], v[0:1], 0.5, v[15:16]
	v_fma_f64 v[15:16], v[0:1], 0.5, -v[15:16]
	v_fma_f64 v[2:3], -v[4:5], v[8:9], v[23:24]
	v_fma_f64 v[6:7], -v[4:5], v[8:9], v[6:7]
	v_lshlrev_b64 v[8:9], 4, v[74:75]
	v_mov_b32_e32 v74, v72
	v_add_co_u32 v8, s0, s1, v8
	v_add_co_ci_u32_e64 v9, s0, s4, v9, s0
	v_fma_f64 v[0:1], v[17:18], v[4:5], v[25:26]
	v_fma_f64 v[4:5], -v[17:18], v[4:5], v[15:16]
	ds_write_b128 v84, v[0:3]
	ds_write_b128 v10, v[4:7] offset:6144
	ds_read_b128 v[0:3], v83
	ds_read_b128 v[4:7], v10 offset:5632
	global_load_dwordx4 v[15:18], v[8:9], off
	s_waitcnt lgkmcnt(0)
	v_add_f64 v[8:9], v[0:1], -v[4:5]
	v_add_f64 v[23:24], v[2:3], v[6:7]
	v_add_f64 v[2:3], v[2:3], -v[6:7]
	v_add_f64 v[0:1], v[0:1], v[4:5]
	v_mul_f64 v[6:7], v[8:9], 0.5
	v_mul_f64 v[8:9], v[23:24], 0.5
	;; [unrolled: 1-line block ×3, first 2 shown]
	s_waitcnt vmcnt(2)
	v_mul_f64 v[4:5], v[6:7], v[13:14]
	v_fma_f64 v[23:24], v[8:9], v[13:14], v[2:3]
	v_fma_f64 v[13:14], v[8:9], v[13:14], -v[2:3]
	v_fma_f64 v[25:26], v[0:1], 0.5, v[4:5]
	v_fma_f64 v[4:5], v[0:1], 0.5, -v[4:5]
	v_fma_f64 v[2:3], -v[11:12], v[6:7], v[23:24]
	v_fma_f64 v[6:7], -v[11:12], v[6:7], v[13:14]
	v_fma_f64 v[0:1], v[8:9], v[11:12], v[25:26]
	v_fma_f64 v[4:5], -v[8:9], v[11:12], v[4:5]
	v_lshlrev_b64 v[8:9], 4, v[73:74]
	ds_write_b128 v83, v[0:3]
	ds_write_b128 v10, v[4:7] offset:5632
	v_add_co_u32 v8, s0, s1, v8
	ds_read_b128 v[0:3], v82
	ds_read_b128 v[4:7], v10 offset:5120
	v_add_co_ci_u32_e64 v9, s0, s4, v9, s0
	global_load_dwordx4 v[11:14], v[8:9], off
	s_waitcnt lgkmcnt(0)
	v_add_f64 v[8:9], v[0:1], -v[4:5]
	v_add_f64 v[23:24], v[2:3], v[6:7]
	v_add_f64 v[2:3], v[2:3], -v[6:7]
	v_add_f64 v[0:1], v[0:1], v[4:5]
	v_mul_f64 v[6:7], v[8:9], 0.5
	v_mul_f64 v[8:9], v[23:24], 0.5
	;; [unrolled: 1-line block ×3, first 2 shown]
	s_waitcnt vmcnt(2)
	v_mul_f64 v[4:5], v[6:7], v[21:22]
	v_fma_f64 v[23:24], v[8:9], v[21:22], v[2:3]
	v_fma_f64 v[21:22], v[8:9], v[21:22], -v[2:3]
	v_fma_f64 v[25:26], v[0:1], 0.5, v[4:5]
	v_fma_f64 v[4:5], v[0:1], 0.5, -v[4:5]
	v_fma_f64 v[2:3], -v[19:20], v[6:7], v[23:24]
	v_fma_f64 v[6:7], -v[19:20], v[6:7], v[21:22]
	v_fma_f64 v[0:1], v[8:9], v[19:20], v[25:26]
	v_fma_f64 v[4:5], -v[8:9], v[19:20], v[4:5]
	ds_write_b128 v82, v[0:3]
	ds_write_b128 v10, v[4:7] offset:5120
	ds_read_b128 v[0:3], v81
	ds_read_b128 v[4:7], v10 offset:4608
	s_waitcnt lgkmcnt(0)
	v_add_f64 v[8:9], v[0:1], -v[4:5]
	v_add_f64 v[19:20], v[2:3], v[6:7]
	v_add_f64 v[2:3], v[2:3], -v[6:7]
	v_add_f64 v[0:1], v[0:1], v[4:5]
	v_mul_f64 v[6:7], v[8:9], 0.5
	v_mul_f64 v[8:9], v[19:20], 0.5
	;; [unrolled: 1-line block ×3, first 2 shown]
	s_waitcnt vmcnt(1)
	v_mul_f64 v[4:5], v[6:7], v[17:18]
	v_fma_f64 v[19:20], v[8:9], v[17:18], v[2:3]
	v_fma_f64 v[17:18], v[8:9], v[17:18], -v[2:3]
	v_fma_f64 v[21:22], v[0:1], 0.5, v[4:5]
	v_fma_f64 v[4:5], v[0:1], 0.5, -v[4:5]
	v_fma_f64 v[2:3], -v[15:16], v[6:7], v[19:20]
	v_fma_f64 v[6:7], -v[15:16], v[6:7], v[17:18]
	v_fma_f64 v[0:1], v[8:9], v[15:16], v[21:22]
	v_fma_f64 v[4:5], -v[8:9], v[15:16], v[4:5]
	ds_write_b128 v81, v[0:3]
	ds_write_b128 v10, v[4:7] offset:4608
	ds_read_b128 v[0:3], v80
	ds_read_b128 v[4:7], v10 offset:4096
	s_waitcnt lgkmcnt(0)
	v_add_f64 v[8:9], v[0:1], -v[4:5]
	v_add_f64 v[15:16], v[2:3], v[6:7]
	v_add_f64 v[2:3], v[2:3], -v[6:7]
	v_add_f64 v[0:1], v[0:1], v[4:5]
	v_mul_f64 v[6:7], v[8:9], 0.5
	v_mul_f64 v[8:9], v[15:16], 0.5
	;; [unrolled: 1-line block ×3, first 2 shown]
	s_waitcnt vmcnt(0)
	v_mul_f64 v[4:5], v[6:7], v[13:14]
	v_fma_f64 v[15:16], v[8:9], v[13:14], v[2:3]
	v_fma_f64 v[13:14], v[8:9], v[13:14], -v[2:3]
	v_fma_f64 v[17:18], v[0:1], 0.5, v[4:5]
	v_fma_f64 v[4:5], v[0:1], 0.5, -v[4:5]
	v_fma_f64 v[2:3], -v[11:12], v[6:7], v[15:16]
	v_fma_f64 v[6:7], -v[11:12], v[6:7], v[13:14]
	v_fma_f64 v[0:1], v[8:9], v[11:12], v[17:18]
	v_fma_f64 v[4:5], -v[8:9], v[11:12], v[4:5]
	ds_write_b128 v80, v[0:3]
	ds_write_b128 v10, v[4:7] offset:4096
	v_cmpx_gt_u32_e32 0xd0, v70
	s_cbranch_execz .LBB0_27
; %bb.26:
	v_mov_b32_e32 v71, v72
	v_lshl_add_u32 v17, v70, 4, v78
	v_lshlrev_b64 v[0:1], 4, v[70:71]
	v_add_co_u32 v0, s0, s1, v0
	v_add_co_ci_u32_e64 v1, s0, s4, v1, s0
	global_load_dwordx4 v[0:3], v[0:1], off
	ds_read_b128 v[4:7], v17
	ds_read_b128 v[11:14], v10 offset:3584
	s_waitcnt lgkmcnt(0)
	v_add_f64 v[8:9], v[4:5], -v[11:12]
	v_add_f64 v[15:16], v[6:7], v[13:14]
	v_add_f64 v[6:7], v[6:7], -v[13:14]
	v_add_f64 v[4:5], v[4:5], v[11:12]
	v_mul_f64 v[8:9], v[8:9], 0.5
	v_mul_f64 v[13:14], v[15:16], 0.5
	;; [unrolled: 1-line block ×3, first 2 shown]
	s_waitcnt vmcnt(0)
	v_mul_f64 v[11:12], v[8:9], v[2:3]
	v_fma_f64 v[15:16], v[13:14], v[2:3], v[6:7]
	v_fma_f64 v[2:3], v[13:14], v[2:3], -v[6:7]
	v_fma_f64 v[6:7], v[4:5], 0.5, v[11:12]
	v_fma_f64 v[11:12], v[4:5], 0.5, -v[11:12]
	v_fma_f64 v[4:5], -v[0:1], v[8:9], v[15:16]
	v_fma_f64 v[8:9], -v[0:1], v[8:9], v[2:3]
	v_fma_f64 v[2:3], v[13:14], v[0:1], v[6:7]
	v_fma_f64 v[6:7], -v[13:14], v[0:1], v[11:12]
	ds_write_b128 v17, v[2:5]
	ds_write_b128 v10, v[6:9] offset:3584
.LBB0_27:
	s_or_b32 exec_lo, exec_lo, s5
	s_waitcnt lgkmcnt(0)
	s_barrier
	buffer_gl0_inv
	s_and_saveexec_b32 s0, vcc_lo
	s_cbranch_execz .LBB0_30
; %bb.28:
	v_mul_lo_u32 v3, s3, v68
	v_mul_lo_u32 v4, s2, v69
	v_mad_u64_u32 v[1:2], null, s2, v68, 0
	v_lshl_add_u32 v0, v66, 4, v78
	v_mov_b32_e32 v67, 0
	v_lshlrev_b64 v[11:12], 4, v[64:65]
	v_add_nc_u32_e32 v13, 32, v66
	v_add_nc_u32_e32 v19, 64, v66
	v_add_nc_u32_e32 v21, 0x60, v66
	v_add3_u32 v2, v2, v4, v3
	ds_read_b128 v[3:6], v0
	ds_read_b128 v[7:10], v0 offset:512
	v_lshlrev_b64 v[15:16], 4, v[66:67]
	v_mov_b32_e32 v14, v67
	v_mov_b32_e32 v20, v67
	v_lshlrev_b64 v[1:2], 4, v[1:2]
	v_mov_b32_e32 v22, v67
	v_add_nc_u32_e32 v27, 0x80, v66
	v_lshlrev_b64 v[25:26], 4, v[13:14]
	v_lshlrev_b64 v[19:20], 4, v[19:20]
	v_mov_b32_e32 v28, v67
	v_add_co_u32 v1, vcc_lo, s10, v1
	v_add_co_ci_u32_e32 v2, vcc_lo, s11, v2, vcc_lo
	v_lshlrev_b64 v[21:22], 4, v[21:22]
	v_add_co_u32 v1, vcc_lo, v1, v11
	v_add_co_ci_u32_e32 v2, vcc_lo, v2, v12, vcc_lo
	v_add_nc_u32_e32 v31, 0xa0, v66
	v_add_co_u32 v23, vcc_lo, v1, v15
	v_add_co_ci_u32_e32 v24, vcc_lo, v2, v16, vcc_lo
	ds_read_b128 v[11:14], v0 offset:1024
	ds_read_b128 v[15:18], v0 offset:1536
	v_mov_b32_e32 v32, v67
	v_lshlrev_b64 v[27:28], 4, v[27:28]
	s_waitcnt lgkmcnt(3)
	global_store_dwordx4 v[23:24], v[3:6], off
	v_add_co_u32 v23, vcc_lo, v1, v25
	v_add_co_ci_u32_e32 v24, vcc_lo, v2, v26, vcc_lo
	v_add_co_u32 v25, vcc_lo, v1, v19
	v_add_co_ci_u32_e32 v26, vcc_lo, v2, v20, vcc_lo
	v_add_co_u32 v29, vcc_lo, v1, v21
	ds_read_b128 v[3:6], v0 offset:2048
	v_add_co_ci_u32_e32 v30, vcc_lo, v2, v22, vcc_lo
	ds_read_b128 v[19:22], v0 offset:2560
	s_waitcnt lgkmcnt(4)
	global_store_dwordx4 v[23:24], v[7:10], off
	s_waitcnt lgkmcnt(3)
	global_store_dwordx4 v[25:26], v[11:14], off
	;; [unrolled: 2-line block ×3, first 2 shown]
	v_lshlrev_b64 v[7:8], 4, v[31:32]
	v_add_co_u32 v9, vcc_lo, v1, v27
	v_add_co_ci_u32_e32 v10, vcc_lo, v2, v28, vcc_lo
	v_add_nc_u32_e32 v11, 0xc0, v66
	v_add_co_u32 v7, vcc_lo, v1, v7
	v_add_co_ci_u32_e32 v8, vcc_lo, v2, v8, vcc_lo
	v_mov_b32_e32 v12, v67
	v_add_nc_u32_e32 v13, 0xe0, v66
	v_mov_b32_e32 v14, v67
	s_waitcnt lgkmcnt(1)
	global_store_dwordx4 v[9:10], v[3:6], off
	v_add_nc_u32_e32 v25, 0x180, v66
	v_lshlrev_b64 v[15:16], 4, v[11:12]
	s_waitcnt lgkmcnt(0)
	global_store_dwordx4 v[7:8], v[19:22], off
	ds_read_b128 v[3:6], v0 offset:3072
	ds_read_b128 v[7:10], v0 offset:3584
	v_lshlrev_b64 v[17:18], 4, v[13:14]
	ds_read_b128 v[11:14], v0 offset:4096
	v_add_nc_u32_e32 v19, 0x100, v66
	v_mov_b32_e32 v20, v67
	v_add_co_u32 v15, vcc_lo, v1, v15
	v_add_co_ci_u32_e32 v16, vcc_lo, v2, v16, vcc_lo
	v_lshlrev_b64 v[19:20], 4, v[19:20]
	v_add_co_u32 v17, vcc_lo, v1, v17
	v_add_nc_u32_e32 v21, 0x120, v66
	v_mov_b32_e32 v22, v67
	v_add_co_ci_u32_e32 v18, vcc_lo, v2, v18, vcc_lo
	v_add_co_u32 v19, vcc_lo, v1, v19
	s_waitcnt lgkmcnt(2)
	global_store_dwordx4 v[15:16], v[3:6], off
	s_waitcnt lgkmcnt(1)
	global_store_dwordx4 v[17:18], v[7:10], off
	v_lshlrev_b64 v[7:8], 4, v[21:22]
	v_add_co_ci_u32_e32 v20, vcc_lo, v2, v20, vcc_lo
	v_add_nc_u32_e32 v9, 0x140, v66
	v_mov_b32_e32 v10, v67
	v_add_nc_u32_e32 v15, 0x160, v66
	s_waitcnt lgkmcnt(0)
	global_store_dwordx4 v[19:20], v[11:14], off
	v_mov_b32_e32 v16, v67
	v_add_co_u32 v19, vcc_lo, v1, v7
	ds_read_b128 v[3:6], v0 offset:4608
	v_add_co_ci_u32_e32 v20, vcc_lo, v2, v8, vcc_lo
	v_lshlrev_b64 v[21:22], 4, v[9:10]
	ds_read_b128 v[7:10], v0 offset:5120
	ds_read_b128 v[11:14], v0 offset:5632
	v_mov_b32_e32 v26, v67
	v_lshlrev_b64 v[23:24], 4, v[15:16]
	ds_read_b128 v[15:18], v0 offset:6144
	v_add_co_u32 v21, vcc_lo, v1, v21
	v_lshlrev_b64 v[25:26], 4, v[25:26]
	v_add_co_ci_u32_e32 v22, vcc_lo, v2, v22, vcc_lo
	v_add_co_u32 v23, vcc_lo, v1, v23
	v_add_co_ci_u32_e32 v24, vcc_lo, v2, v24, vcc_lo
	v_add_co_u32 v25, vcc_lo, v1, v25
	v_add_co_ci_u32_e32 v26, vcc_lo, v2, v26, vcc_lo
	v_cmp_eq_u32_e32 vcc_lo, 31, v66
	s_waitcnt lgkmcnt(3)
	global_store_dwordx4 v[19:20], v[3:6], off
	s_waitcnt lgkmcnt(2)
	global_store_dwordx4 v[21:22], v[7:10], off
	;; [unrolled: 2-line block ×4, first 2 shown]
	s_and_b32 exec_lo, exec_lo, vcc_lo
	s_cbranch_execz .LBB0_30
; %bb.29:
	ds_read_b128 v[3:6], v0 offset:6160
	v_add_co_u32 v0, vcc_lo, 0x1800, v1
	v_add_co_ci_u32_e32 v1, vcc_lo, 0, v2, vcc_lo
	s_waitcnt lgkmcnt(0)
	global_store_dwordx4 v[0:1], v[3:6], off offset:512
.LBB0_30:
	s_endpgm
	.section	.rodata,"a",@progbits
	.p2align	6, 0x0
	.amdhsa_kernel fft_rtc_fwd_len416_factors_13_2_16_wgs_64_tpt_32_dp_op_CI_CI_unitstride_sbrr_R2C_dirReg
		.amdhsa_group_segment_fixed_size 0
		.amdhsa_private_segment_fixed_size 0
		.amdhsa_kernarg_size 104
		.amdhsa_user_sgpr_count 6
		.amdhsa_user_sgpr_private_segment_buffer 1
		.amdhsa_user_sgpr_dispatch_ptr 0
		.amdhsa_user_sgpr_queue_ptr 0
		.amdhsa_user_sgpr_kernarg_segment_ptr 1
		.amdhsa_user_sgpr_dispatch_id 0
		.amdhsa_user_sgpr_flat_scratch_init 0
		.amdhsa_user_sgpr_private_segment_size 0
		.amdhsa_wavefront_size32 1
		.amdhsa_uses_dynamic_stack 0
		.amdhsa_system_sgpr_private_segment_wavefront_offset 0
		.amdhsa_system_sgpr_workgroup_id_x 1
		.amdhsa_system_sgpr_workgroup_id_y 0
		.amdhsa_system_sgpr_workgroup_id_z 0
		.amdhsa_system_sgpr_workgroup_info 0
		.amdhsa_system_vgpr_workitem_id 0
		.amdhsa_next_free_vgpr 165
		.amdhsa_next_free_sgpr 36
		.amdhsa_reserve_vcc 1
		.amdhsa_reserve_flat_scratch 0
		.amdhsa_float_round_mode_32 0
		.amdhsa_float_round_mode_16_64 0
		.amdhsa_float_denorm_mode_32 3
		.amdhsa_float_denorm_mode_16_64 3
		.amdhsa_dx10_clamp 1
		.amdhsa_ieee_mode 1
		.amdhsa_fp16_overflow 0
		.amdhsa_workgroup_processor_mode 1
		.amdhsa_memory_ordered 1
		.amdhsa_forward_progress 0
		.amdhsa_shared_vgpr_count 0
		.amdhsa_exception_fp_ieee_invalid_op 0
		.amdhsa_exception_fp_denorm_src 0
		.amdhsa_exception_fp_ieee_div_zero 0
		.amdhsa_exception_fp_ieee_overflow 0
		.amdhsa_exception_fp_ieee_underflow 0
		.amdhsa_exception_fp_ieee_inexact 0
		.amdhsa_exception_int_div_zero 0
	.end_amdhsa_kernel
	.text
.Lfunc_end0:
	.size	fft_rtc_fwd_len416_factors_13_2_16_wgs_64_tpt_32_dp_op_CI_CI_unitstride_sbrr_R2C_dirReg, .Lfunc_end0-fft_rtc_fwd_len416_factors_13_2_16_wgs_64_tpt_32_dp_op_CI_CI_unitstride_sbrr_R2C_dirReg
                                        ; -- End function
	.section	.AMDGPU.csdata,"",@progbits
; Kernel info:
; codeLenInByte = 11800
; NumSgprs: 38
; NumVgprs: 165
; ScratchSize: 0
; MemoryBound: 0
; FloatMode: 240
; IeeeMode: 1
; LDSByteSize: 0 bytes/workgroup (compile time only)
; SGPRBlocks: 4
; VGPRBlocks: 20
; NumSGPRsForWavesPerEU: 38
; NumVGPRsForWavesPerEU: 165
; Occupancy: 5
; WaveLimiterHint : 1
; COMPUTE_PGM_RSRC2:SCRATCH_EN: 0
; COMPUTE_PGM_RSRC2:USER_SGPR: 6
; COMPUTE_PGM_RSRC2:TRAP_HANDLER: 0
; COMPUTE_PGM_RSRC2:TGID_X_EN: 1
; COMPUTE_PGM_RSRC2:TGID_Y_EN: 0
; COMPUTE_PGM_RSRC2:TGID_Z_EN: 0
; COMPUTE_PGM_RSRC2:TIDIG_COMP_CNT: 0
	.text
	.p2alignl 6, 3214868480
	.fill 48, 4, 3214868480
	.type	__hip_cuid_a40d9044e6b340c5,@object ; @__hip_cuid_a40d9044e6b340c5
	.section	.bss,"aw",@nobits
	.globl	__hip_cuid_a40d9044e6b340c5
__hip_cuid_a40d9044e6b340c5:
	.byte	0                               ; 0x0
	.size	__hip_cuid_a40d9044e6b340c5, 1

	.ident	"AMD clang version 19.0.0git (https://github.com/RadeonOpenCompute/llvm-project roc-6.4.0 25133 c7fe45cf4b819c5991fe208aaa96edf142730f1d)"
	.section	".note.GNU-stack","",@progbits
	.addrsig
	.addrsig_sym __hip_cuid_a40d9044e6b340c5
	.amdgpu_metadata
---
amdhsa.kernels:
  - .args:
      - .actual_access:  read_only
        .address_space:  global
        .offset:         0
        .size:           8
        .value_kind:     global_buffer
      - .offset:         8
        .size:           8
        .value_kind:     by_value
      - .actual_access:  read_only
        .address_space:  global
        .offset:         16
        .size:           8
        .value_kind:     global_buffer
      - .actual_access:  read_only
        .address_space:  global
        .offset:         24
        .size:           8
        .value_kind:     global_buffer
      - .actual_access:  read_only
        .address_space:  global
        .offset:         32
        .size:           8
        .value_kind:     global_buffer
      - .offset:         40
        .size:           8
        .value_kind:     by_value
      - .actual_access:  read_only
        .address_space:  global
        .offset:         48
        .size:           8
        .value_kind:     global_buffer
      - .actual_access:  read_only
        .address_space:  global
        .offset:         56
        .size:           8
        .value_kind:     global_buffer
      - .offset:         64
        .size:           4
        .value_kind:     by_value
      - .actual_access:  read_only
        .address_space:  global
        .offset:         72
        .size:           8
        .value_kind:     global_buffer
      - .actual_access:  read_only
        .address_space:  global
        .offset:         80
        .size:           8
        .value_kind:     global_buffer
      - .actual_access:  read_only
        .address_space:  global
        .offset:         88
        .size:           8
        .value_kind:     global_buffer
      - .actual_access:  write_only
        .address_space:  global
        .offset:         96
        .size:           8
        .value_kind:     global_buffer
    .group_segment_fixed_size: 0
    .kernarg_segment_align: 8
    .kernarg_segment_size: 104
    .language:       OpenCL C
    .language_version:
      - 2
      - 0
    .max_flat_workgroup_size: 64
    .name:           fft_rtc_fwd_len416_factors_13_2_16_wgs_64_tpt_32_dp_op_CI_CI_unitstride_sbrr_R2C_dirReg
    .private_segment_fixed_size: 0
    .sgpr_count:     38
    .sgpr_spill_count: 0
    .symbol:         fft_rtc_fwd_len416_factors_13_2_16_wgs_64_tpt_32_dp_op_CI_CI_unitstride_sbrr_R2C_dirReg.kd
    .uniform_work_group_size: 1
    .uses_dynamic_stack: false
    .vgpr_count:     165
    .vgpr_spill_count: 0
    .wavefront_size: 32
    .workgroup_processor_mode: 1
amdhsa.target:   amdgcn-amd-amdhsa--gfx1030
amdhsa.version:
  - 1
  - 2
...

	.end_amdgpu_metadata
